;; amdgpu-corpus repo=linkedin/Liger-Kernel kind=triton arch=gfx950 opt=O3 lang=triton
	.amdgcn_target "amdgcn-amd-amdhsa--gfx950"
	.amdhsa_code_object_version 5
	.text
	.globl	_sparsemax_backward_kernel      ; -- Begin function _sparsemax_backward_kernel
	.p2align	8
	.type	_sparsemax_backward_kernel,@function
_sparsemax_backward_kernel:             ; @_sparsemax_backward_kernel
.Lfunc_begin0:
	.cfi_sections .debug_frame
	.cfi_startproc
; %bb.60:
	.file	1 "/root/src/amdgpu-assembly/repos/linkedin__Liger-Kernel/triton_aot_kernels" "sparsemax_aot.py"
	.loc	1 67 0 prologue_end             ; sparsemax_aot.py:67:0
	s_load_dwordx2 s[2:3], s[0:1], 0x0
	s_load_dwordx8 s[4:11], s[0:1], 0x8
	s_load_dwordx2 s[12:13], s[0:1], 0x28
	s_waitcnt lgkmcnt(0)
	s_branch .LBB0_0
	.loc	1 0 0 is_stmt 0                 ; :0:0
.Ltmp0:
	.p2align	8
; %bb.61:
.LBB0_0:
.Ltmp1:
	.loc	1 71 26 is_stmt 1               ; sparsemax_aot.py:71:26
	s_mul_i32 s10, s8, s14
	.loc	1 71 20 is_stmt 0               ; sparsemax_aot.py:71:20
	s_ashr_i32 s11, s10, 31
	s_lshl_b64 s[18:19], s[10:11], 2
	s_add_u32 s14, s2, s18
	s_addc_u32 s15, s3, s19
	.loc	1 72 22 is_stmt 1               ; sparsemax_aot.py:72:22
	s_add_u32 s16, s4, s18
	s_addc_u32 s17, s5, s19
.Ltmp2:
	.file	2 "/root/.local/lib/python3.13/site-packages/triton/language" "standard.py"
	.loc	2 43 17                         ; standard.py:43:17 @[ sparsemax_aot.py:80:41 ]
	s_add_i32 s2, s9, 0x3ff
	.loc	2 43 30 is_stmt 0               ; standard.py:43:30 @[ sparsemax_aot.py:80:41 ]
	s_ashr_i32 s3, s2, 31
	s_lshr_b32 s3, s3, 22
.Ltmp3:
	.loc	2 293 36 is_stmt 1              ; standard.py:293:36 @[ sparsemax_aot.py:87:27 ]
	v_readfirstlane_b32 s0, v0
.Ltmp4:
	.loc	2 43 30                         ; standard.py:43:30 @[ sparsemax_aot.py:80:41 ]
	s_add_i32 s3, s2, s3
.Ltmp5:
	.loc	1 75 24                         ; sparsemax_aot.py:75:24
	s_and_b32 s1, s0, 0xc0
.Ltmp6:
	.loc	2 43 30                         ; standard.py:43:30 @[ sparsemax_aot.py:80:41 ]
	s_ashr_i32 s8, s3, 10
.Ltmp7:
	.loc	1 75 24                         ; sparsemax_aot.py:75:24
	v_and_b32_e32 v1, 63, v0
	.loc	1 80 25                         ; sparsemax_aot.py:80:25
	s_cmpk_gt_i32 s2, 0x3ff
	.loc	1 75 24                         ; sparsemax_aot.py:75:24
	v_or_b32_e32 v2, s1, v1
	.loc	1 80 25                         ; sparsemax_aot.py:80:25
	s_cselect_b64 s[20:21], -1, 0
	s_cmpk_lt_i32 s2, 0x400
	v_mov_b32_e32 v9, 0
	v_add_u32_e32 v8, s1, v1
	s_cbranch_scc1 .LBB0_32
; %bb.1:                                ; %.lr.ph
	.loc	1 0 25 is_stmt 0                ; sparsemax_aot.py:0:25
	s_lshr_b32 s0, s0, 4
	s_and_b32 s0, s0, 12
	s_add_i32 s28, s0, 0
	v_cmp_gt_u32_e64 s[0:1], 4, v0
	v_lshl_add_u32 v10, v0, 2, 0
	v_and_b32_e32 v0, 3, v0
	v_cmp_eq_u32_e64 s[2:3], 0, v0
	v_mov_b32_e32 v3, 0
	s_mov_b32 s22, 0
	v_cmp_eq_u32_e32 vcc, 0, v1
	s_and_b64 s[24:25], s[0:1], s[2:3]
	s_mov_b32 s29, s8
	v_mov_b32_e32 v9, v3
	v_mov_b32_e32 v11, v3
	s_branch .LBB0_3
.LBB0_2:                                ;   in Loop: Header=BB0_3 Depth=1
	s_or_b64 exec, exec, s[2:3]
.Ltmp8:
	.loc	2 293 36 is_stmt 1              ; standard.py:293:36 @[ sparsemax_aot.py:87:27 ]
	s_waitcnt lgkmcnt(0)
	s_barrier
	ds_read_b32 v1, v3
.Ltmp9:
	.loc	1 80 25                         ; sparsemax_aot.py:80:25
	s_add_i32 s29, s29, -1
	s_addk_i32 s22, 0x400
	.loc	1 86 18                         ; sparsemax_aot.py:86:18
	v_add_f32_e32 v9, v9, v0
	.loc	1 80 25                         ; sparsemax_aot.py:80:25
	s_cmp_lg_u32 s29, 0
	.loc	1 87 20                         ; sparsemax_aot.py:87:20
	s_waitcnt lgkmcnt(0)
	v_add_f32_e32 v11, v11, v1
	.loc	1 80 25                         ; sparsemax_aot.py:80:25
	s_cbranch_scc0 .LBB0_31
.LBB0_3:                                ; =>This Inner Loop Header: Depth=1
	.loc	1 81 37                         ; sparsemax_aot.py:81:37
	v_add_u32_e32 v0, s22, v8
	.loc	1 83 24                         ; sparsemax_aot.py:83:24
	v_mov_b32_e32 v12, 0
	.loc	1 82 32                         ; sparsemax_aot.py:82:32
	v_cmp_gt_i32_e64 s[2:3], s9, v0
	v_ashrrev_i32_e32 v1, 31, v0
	v_mov_b32_e32 v13, v12
	.loc	1 83 24                         ; sparsemax_aot.py:83:24
	s_and_saveexec_b64 s[4:5], s[2:3]
	s_cbranch_execz .LBB0_5
; %bb.4:                                ;   in Loop: Header=BB0_3 Depth=1
	.loc	1 0 24 is_stmt 0                ; sparsemax_aot.py:0:24
	v_lshl_add_u64 v[4:5], v[0:1], 2, s[14:15]
	.loc	1 83 24                         ; sparsemax_aot.py:83:24
	global_load_dword v13, v[4:5], off
.LBB0_5:                                ;   in Loop: Header=BB0_3 Depth=1
	.loc	1 0 24                          ; sparsemax_aot.py:0:24
	s_or_b64 exec, exec, s[4:5]
	.loc	1 81 37 is_stmt 1               ; sparsemax_aot.py:81:37
	v_add_u32_e32 v4, 0x100, v0
	.loc	1 83 32                         ; sparsemax_aot.py:83:32
	s_ashr_i32 s23, s22, 31
	.loc	1 82 32                         ; sparsemax_aot.py:82:32
	v_cmp_gt_i32_e64 s[4:5], s9, v4
	v_lshl_add_u64 v[4:5], s[22:23], 0, v[2:3]
	.loc	1 83 32                         ; sparsemax_aot.py:83:32
	v_lshl_add_u64 v[6:7], v[4:5], 2, s[14:15]
	.loc	1 83 24 is_stmt 0               ; sparsemax_aot.py:83:24
	s_and_saveexec_b64 s[10:11], s[4:5]
	s_cbranch_execz .LBB0_7
; %bb.6:                                ;   in Loop: Header=BB0_3 Depth=1
	global_load_dword v12, v[6:7], off offset:1024
.LBB0_7:                                ;   in Loop: Header=BB0_3 Depth=1
	.loc	1 0 24                          ; sparsemax_aot.py:0:24
	s_or_b64 exec, exec, s[10:11]
	.loc	1 81 37 is_stmt 1               ; sparsemax_aot.py:81:37
	v_add_u32_e32 v14, 0x200, v0
	.loc	1 82 32                         ; sparsemax_aot.py:82:32
	v_cmp_gt_i32_e64 s[12:13], s9, v14
	.loc	1 83 24                         ; sparsemax_aot.py:83:24
	v_mov_b32_e32 v14, 0
	v_mov_b32_e32 v15, v14
	s_and_saveexec_b64 s[10:11], s[12:13]
	s_cbranch_execz .LBB0_9
; %bb.8:                                ;   in Loop: Header=BB0_3 Depth=1
	global_load_dword v15, v[6:7], off offset:2048
.LBB0_9:                                ;   in Loop: Header=BB0_3 Depth=1
	.loc	1 0 24 is_stmt 0                ; sparsemax_aot.py:0:24
	s_or_b64 exec, exec, s[10:11]
	.loc	1 82 32 is_stmt 1               ; sparsemax_aot.py:82:32
	v_add_u32_e32 v16, 0x300, v0
	v_cmp_gt_i32_e64 s[10:11], s9, v16
	.loc	1 83 24                         ; sparsemax_aot.py:83:24
	s_and_saveexec_b64 s[26:27], s[10:11]
	s_cbranch_execz .LBB0_11
; %bb.10:                               ;   in Loop: Header=BB0_3 Depth=1
	global_load_dword v14, v[6:7], off offset:3072
.LBB0_11:                               ;   in Loop: Header=BB0_3 Depth=1
	.loc	1 0 24 is_stmt 0                ; sparsemax_aot.py:0:24
	s_or_b64 exec, exec, s[26:27]
	.loc	1 84 25 is_stmt 1               ; sparsemax_aot.py:84:25
	v_mov_b32_e32 v6, 0
	v_mov_b32_e32 v7, v6
	s_and_saveexec_b64 s[26:27], s[2:3]
	s_cbranch_execz .LBB0_13
; %bb.12:                               ;   in Loop: Header=BB0_3 Depth=1
	.loc	1 0 25 is_stmt 0                ; sparsemax_aot.py:0:25
	v_lshl_add_u64 v[0:1], v[0:1], 2, s[16:17]
	.loc	1 84 25                         ; sparsemax_aot.py:84:25
	global_load_dword v7, v[0:1], off
.LBB0_13:                               ;   in Loop: Header=BB0_3 Depth=1
	.loc	1 0 25                          ; sparsemax_aot.py:0:25
	s_or_b64 exec, exec, s[26:27]
	.loc	1 84 34                         ; sparsemax_aot.py:84:34
	v_lshl_add_u64 v[0:1], v[4:5], 2, s[16:17]
	.loc	1 84 25                         ; sparsemax_aot.py:84:25
	s_and_saveexec_b64 s[2:3], s[4:5]
	s_cbranch_execz .LBB0_15
; %bb.14:                               ;   in Loop: Header=BB0_3 Depth=1
	global_load_dword v6, v[0:1], off offset:1024
.LBB0_15:                               ;   in Loop: Header=BB0_3 Depth=1
	.loc	1 0 25                          ; sparsemax_aot.py:0:25
	s_or_b64 exec, exec, s[2:3]
	.loc	1 84 25                         ; sparsemax_aot.py:84:25
	v_mov_b32_e32 v4, 0
	v_mov_b32_e32 v5, v4
	s_and_saveexec_b64 s[2:3], s[12:13]
	s_cbranch_execz .LBB0_17
; %bb.16:                               ;   in Loop: Header=BB0_3 Depth=1
	global_load_dword v5, v[0:1], off offset:2048
.LBB0_17:                               ;   in Loop: Header=BB0_3 Depth=1
	.loc	1 0 25                          ; sparsemax_aot.py:0:25
	s_or_b64 exec, exec, s[2:3]
	.loc	1 84 25                         ; sparsemax_aot.py:84:25
	s_and_saveexec_b64 s[2:3], s[10:11]
	s_cbranch_execz .LBB0_19
; %bb.18:                               ;   in Loop: Header=BB0_3 Depth=1
	global_load_dword v4, v[0:1], off offset:3072
.LBB0_19:                               ;   in Loop: Header=BB0_3 Depth=1
	.loc	1 0 25                          ; sparsemax_aot.py:0:25
	s_or_b64 exec, exec, s[2:3]
	.loc	1 85 23 is_stmt 1               ; sparsemax_aot.py:85:23
	s_waitcnt vmcnt(0)
	v_cmp_lt_f32_e64 s[2:3], 0, v13
	v_cmp_lt_f32_e64 s[4:5], 0, v12
	;; [unrolled: 1-line block ×3, first 2 shown]
	.loc	1 86 48                         ; sparsemax_aot.py:86:48
	v_cndmask_b32_e64 v0, 0, v7, s[2:3]
	v_cndmask_b32_e64 v1, 0, v6, s[4:5]
	;; [unrolled: 1-line block ×3, first 2 shown]
	.loc	1 85 23                         ; sparsemax_aot.py:85:23
	v_cmp_lt_f32_e64 s[10:11], 0, v14
.Ltmp10:
	.loc	2 263 15                        ; standard.py:263:15 @[ standard.py:293:36 @[ sparsemax_aot.py:86:25 ] ]
	v_add_f32_e32 v0, v0, v1
	v_add_f32_e32 v0, v0, v5
.Ltmp11:
	.loc	1 86 48                         ; sparsemax_aot.py:86:48
	v_cndmask_b32_e64 v4, 0, v4, s[10:11]
.Ltmp12:
	.loc	2 263 15                        ; standard.py:263:15 @[ standard.py:293:36 @[ sparsemax_aot.py:86:25 ] ]
	v_add_f32_e32 v0, v0, v4
.Ltmp13:
	.loc	2 293 36                        ; standard.py:293:36 @[ sparsemax_aot.py:86:25 ]
	s_waitcnt lgkmcnt(0)
	s_barrier
.Ltmp14:
	.loc	2 263 15                        ; standard.py:263:15 @[ standard.py:293:36 @[ sparsemax_aot.py:86:25 ] ]
	v_add_f32_dpp v0, v0, v0 row_shr:8 row_mask:0xf bank_mask:0xf bound_ctrl:1
	s_nop 1
	v_add_f32_dpp v0, v0, v0 row_shr:4 row_mask:0xf bank_mask:0xf bound_ctrl:1
	s_nop 1
	;; [unrolled: 2-line block ×3, first 2 shown]
	v_add_f32_dpp v0, v0, v0 row_shr:1 row_mask:0xf bank_mask:0xf bound_ctrl:1
.Ltmp15:
	.loc	2 293 36                        ; standard.py:293:36 @[ sparsemax_aot.py:86:25 ]
	v_mov_b32_e32 v1, v0
	s_nop 1
	v_mov_b32_dpp v1, v1 row_bcast:15 row_mask:0xa bank_mask:0xf bound_ctrl:1
.Ltmp16:
	.loc	2 263 15                        ; standard.py:263:15 @[ standard.py:293:36 @[ sparsemax_aot.py:86:25 ] ]
	v_add_f32_e32 v0, v0, v1
	s_nop 1
	v_add_f32_dpp v0, v0, v0 row_bcast:31 row_mask:0xf bank_mask:0xf bound_ctrl:1
.Ltmp17:
	.loc	2 293 36                        ; standard.py:293:36 @[ sparsemax_aot.py:86:25 ]
	s_nop 0
	v_readlane_b32 s23, v0, 63
	s_and_saveexec_b64 s[26:27], vcc
; %bb.20:                               ;   in Loop: Header=BB0_3 Depth=1
	v_mov_b32_e32 v0, s28
	v_mov_b32_e32 v1, s23
	ds_write_b32 v0, v1
.Ltmp18:
; %bb.21:                               ;   in Loop: Header=BB0_3 Depth=1
	.loc	2 0 36 is_stmt 0                ; standard.py:0:36
	s_or_b64 exec, exec, s[26:27]
	.loc	1 86 25 is_stmt 1               ; sparsemax_aot.py:86:25
	v_mov_b32_e32 v0, 0
.Ltmp19:
	.loc	2 293 36                        ; standard.py:293:36 @[ sparsemax_aot.py:86:25 ]
	s_waitcnt lgkmcnt(0)
	s_barrier
	s_and_saveexec_b64 s[26:27], s[0:1]
; %bb.22:                               ;   in Loop: Header=BB0_3 Depth=1
	ds_read_b32 v0, v10
; %bb.23:                               ;   in Loop: Header=BB0_3 Depth=1
	.loc	2 0 36 is_stmt 0                ; standard.py:0:36
	s_or_b64 exec, exec, s[26:27]
	.loc	2 293 36                        ; standard.py:293:36 @[ sparsemax_aot.py:86:25 ]
	s_waitcnt lgkmcnt(0)
	v_mov_b32_e32 v1, v0
	s_nop 1
	v_mov_b32_dpp v1, v1 quad_perm:[2,3,0,1] row_mask:0xf bank_mask:0xf
.Ltmp20:
	.loc	2 263 15 is_stmt 1              ; standard.py:263:15 @[ standard.py:293:36 @[ sparsemax_aot.py:86:25 ] ]
	v_add_f32_e32 v0, v0, v1
.Ltmp21:
	.loc	2 293 36                        ; standard.py:293:36 @[ sparsemax_aot.py:86:25 ]
	v_mov_b32_e32 v1, v0
	s_nop 1
	v_mov_b32_dpp v1, v1 quad_perm:[1,0,3,2] row_mask:0xf bank_mask:0xf
	s_and_saveexec_b64 s[26:27], s[24:25]
; %bb.24:                               ;   in Loop: Header=BB0_3 Depth=1
	.loc	2 0 36 is_stmt 0                ; standard.py:0:36
	v_add_f32_e32 v0, v0, v1
	.loc	2 293 36                        ; standard.py:293:36 @[ sparsemax_aot.py:86:25 ]
	ds_write_b32 v10, v0
.Ltmp22:
; %bb.25:                               ;   in Loop: Header=BB0_3 Depth=1
	.loc	2 0 36                          ; standard.py:0:36
	s_or_b64 exec, exec, s[26:27]
	.loc	1 87 35 is_stmt 1               ; sparsemax_aot.py:87:35
	v_cndmask_b32_e64 v1, 0, 1.0, s[2:3]
	v_cndmask_b32_e64 v4, 0, 1.0, s[4:5]
	;; [unrolled: 1-line block ×3, first 2 shown]
.Ltmp23:
	.loc	2 263 15                        ; standard.py:263:15 @[ standard.py:293:36 @[ sparsemax_aot.py:87:27 ] ]
	v_add_f32_e32 v1, v1, v4
.Ltmp24:
	.loc	1 87 35                         ; sparsemax_aot.py:87:35
	v_cndmask_b32_e64 v6, 0, 1.0, s[10:11]
.Ltmp25:
	.loc	2 263 15                        ; standard.py:263:15 @[ standard.py:293:36 @[ sparsemax_aot.py:87:27 ] ]
	v_add_f32_e32 v1, v1, v5
	v_add_f32_e32 v1, v1, v6
.Ltmp26:
	.loc	2 293 36                        ; standard.py:293:36 @[ sparsemax_aot.py:86:25 ]
	s_waitcnt lgkmcnt(0)
	s_barrier
.Ltmp27:
	.loc	2 263 15                        ; standard.py:263:15 @[ standard.py:293:36 @[ sparsemax_aot.py:87:27 ] ]
	v_add_f32_dpp v1, v1, v1 row_shr:8 row_mask:0xf bank_mask:0xf bound_ctrl:1
.Ltmp28:
	.loc	2 293 36                        ; standard.py:293:36 @[ sparsemax_aot.py:86:25 ]
	ds_read_b32 v0, v3
.Ltmp29:
	.loc	2 293 36 is_stmt 0              ; standard.py:293:36 @[ sparsemax_aot.py:87:27 ]
	s_waitcnt lgkmcnt(0)
.Ltmp30:
	.loc	2 263 15 is_stmt 1              ; standard.py:263:15 @[ standard.py:293:36 @[ sparsemax_aot.py:87:27 ] ]
	v_add_f32_dpp v1, v1, v1 row_shr:4 row_mask:0xf bank_mask:0xf bound_ctrl:1
.Ltmp31:
	.loc	2 293 36                        ; standard.py:293:36 @[ sparsemax_aot.py:87:27 ]
	s_barrier
.Ltmp32:
	.loc	2 263 15                        ; standard.py:263:15 @[ standard.py:293:36 @[ sparsemax_aot.py:87:27 ] ]
	s_nop 0
	v_add_f32_dpp v1, v1, v1 row_shr:2 row_mask:0xf bank_mask:0xf bound_ctrl:1
	s_nop 1
	v_add_f32_dpp v1, v1, v1 row_shr:1 row_mask:0xf bank_mask:0xf bound_ctrl:1
.Ltmp33:
	.loc	2 293 36                        ; standard.py:293:36 @[ sparsemax_aot.py:87:27 ]
	v_mov_b32_e32 v4, v1
	s_nop 1
	v_mov_b32_dpp v4, v4 row_bcast:15 row_mask:0xa bank_mask:0xf bound_ctrl:1
.Ltmp34:
	.loc	2 263 15                        ; standard.py:263:15 @[ standard.py:293:36 @[ sparsemax_aot.py:87:27 ] ]
	v_add_f32_e32 v1, v1, v4
	s_nop 1
	v_add_f32_dpp v1, v1, v1 row_bcast:31 row_mask:0xf bank_mask:0xf bound_ctrl:1
.Ltmp35:
	.loc	2 293 36                        ; standard.py:293:36 @[ sparsemax_aot.py:87:27 ]
	s_nop 0
	v_readlane_b32 s4, v1, 63
	s_and_saveexec_b64 s[2:3], vcc
; %bb.26:                               ;   in Loop: Header=BB0_3 Depth=1
	v_mov_b32_e32 v1, s28
	v_mov_b32_e32 v4, s4
	ds_write_b32 v1, v4
.Ltmp36:
; %bb.27:                               ;   in Loop: Header=BB0_3 Depth=1
	.loc	2 0 36 is_stmt 0                ; standard.py:0:36
	s_or_b64 exec, exec, s[2:3]
	.loc	1 87 27 is_stmt 1               ; sparsemax_aot.py:87:27
	v_mov_b32_e32 v1, 0
.Ltmp37:
	.loc	2 293 36                        ; standard.py:293:36 @[ sparsemax_aot.py:87:27 ]
	s_waitcnt lgkmcnt(0)
	s_barrier
	s_and_saveexec_b64 s[2:3], s[0:1]
; %bb.28:                               ;   in Loop: Header=BB0_3 Depth=1
	ds_read_b32 v1, v10
; %bb.29:                               ;   in Loop: Header=BB0_3 Depth=1
	.loc	2 0 36 is_stmt 0                ; standard.py:0:36
	s_or_b64 exec, exec, s[2:3]
	.loc	2 293 36                        ; standard.py:293:36 @[ sparsemax_aot.py:87:27 ]
	s_waitcnt lgkmcnt(0)
	v_mov_b32_e32 v4, v1
	s_nop 1
	v_mov_b32_dpp v4, v4 quad_perm:[2,3,0,1] row_mask:0xf bank_mask:0xf
.Ltmp38:
	.loc	2 263 15 is_stmt 1              ; standard.py:263:15 @[ standard.py:293:36 @[ sparsemax_aot.py:87:27 ] ]
	v_add_f32_e32 v1, v1, v4
.Ltmp39:
	.loc	2 293 36                        ; standard.py:293:36 @[ sparsemax_aot.py:87:27 ]
	v_mov_b32_e32 v4, v1
	s_nop 1
	v_mov_b32_dpp v4, v4 quad_perm:[1,0,3,2] row_mask:0xf bank_mask:0xf
	s_and_saveexec_b64 s[2:3], s[24:25]
	s_cbranch_execz .LBB0_2
; %bb.30:                               ;   in Loop: Header=BB0_3 Depth=1
	.loc	2 0 36 is_stmt 0                ; standard.py:0:36
	v_add_f32_e32 v1, v1, v4
	.loc	2 293 36                        ; standard.py:293:36 @[ sparsemax_aot.py:87:27 ]
	ds_write_b32 v10, v1
	s_branch .LBB0_2
.Ltmp40:
.LBB0_31:                               ; %._crit_edge.loopexit
	.loc	1 97 59 is_stmt 1               ; sparsemax_aot.py:97:59
	v_max_f32_e32 v0, v11, v11
	v_max_f32_e32 v0, 0x358637bd, v0
	v_div_scale_f32 v1, s[0:1], v0, v0, v9
	v_rcp_f32_e32 v3, v1
	v_div_scale_f32 v4, vcc, v9, v0, v9
	v_fma_f32 v5, -v1, v3, 1.0
	v_fmac_f32_e32 v3, v5, v3
	v_mul_f32_e32 v5, v4, v3
	v_fma_f32 v6, -v1, v5, v4
	v_fmac_f32_e32 v5, v6, v3
	v_fma_f32 v1, -v1, v5, v4
	v_div_fmas_f32 v1, v1, v3, v5
	v_div_fixup_f32 v9, v1, v0, v9
.LBB0_32:                               ; %._crit_edge
	.loc	1 89 25                         ; sparsemax_aot.py:89:25
	s_andn2_b64 vcc, exec, s[20:21]
	s_cbranch_vccnz .LBB0_59
; %bb.33:                               ; %.lr.ph6.preheader
	.loc	1 73 22                         ; sparsemax_aot.py:73:22
	s_add_u32 s6, s6, s18
	s_addc_u32 s7, s7, s19
	v_mov_b32_e32 v3, 0
	s_mov_b32 s10, 0
	s_branch .LBB0_35
.LBB0_34:                               ;   in Loop: Header=BB0_35 Depth=1
	.loc	1 0 22 is_stmt 0                ; sparsemax_aot.py:0:22
	s_or_b64 exec, exec, s[0:1]
	.loc	1 89 25 is_stmt 1               ; sparsemax_aot.py:89:25
	s_add_i32 s8, s8, -1
	s_addk_i32 s10, 0x400
	s_cmp_lg_u32 s8, 0
	s_cbranch_scc0 .LBB0_59
.LBB0_35:                               ; %.lr.ph6
                                        ; =>This Inner Loop Header: Depth=1
	.loc	1 90 37                         ; sparsemax_aot.py:90:37
	v_add_u32_e32 v0, s10, v8
	.loc	1 92 24                         ; sparsemax_aot.py:92:24
	s_waitcnt vmcnt(0)
	v_mov_b32_e32 v10, 0
	.loc	1 91 32                         ; sparsemax_aot.py:91:32
	v_cmp_gt_i32_e32 vcc, s9, v0
	v_ashrrev_i32_e32 v1, 31, v0
	v_mov_b32_e32 v12, v10
	.loc	1 92 24                         ; sparsemax_aot.py:92:24
	s_and_saveexec_b64 s[0:1], vcc
	s_cbranch_execz .LBB0_37
; %bb.36:                               ;   in Loop: Header=BB0_35 Depth=1
	.loc	1 0 24 is_stmt 0                ; sparsemax_aot.py:0:24
	v_lshl_add_u64 v[4:5], v[0:1], 2, s[14:15]
	.loc	1 92 24                         ; sparsemax_aot.py:92:24
	global_load_dword v12, v[4:5], off
.LBB0_37:                               ;   in Loop: Header=BB0_35 Depth=1
	.loc	1 0 24                          ; sparsemax_aot.py:0:24
	s_or_b64 exec, exec, s[0:1]
	.loc	1 90 37 is_stmt 1               ; sparsemax_aot.py:90:37
	v_add_u32_e32 v4, 0x100, v0
	.loc	1 92 32                         ; sparsemax_aot.py:92:32
	s_ashr_i32 s11, s10, 31
	.loc	1 91 32                         ; sparsemax_aot.py:91:32
	v_cmp_gt_i32_e64 s[0:1], s9, v4
	v_lshl_add_u64 v[4:5], s[10:11], 0, v[2:3]
	.loc	1 92 32                         ; sparsemax_aot.py:92:32
	v_lshl_add_u64 v[6:7], v[4:5], 2, s[14:15]
	.loc	1 92 24 is_stmt 0               ; sparsemax_aot.py:92:24
	s_and_saveexec_b64 s[2:3], s[0:1]
	s_cbranch_execz .LBB0_39
; %bb.38:                               ;   in Loop: Header=BB0_35 Depth=1
	global_load_dword v10, v[6:7], off offset:1024
.LBB0_39:                               ;   in Loop: Header=BB0_35 Depth=1
	.loc	1 0 24                          ; sparsemax_aot.py:0:24
	s_or_b64 exec, exec, s[2:3]
	.loc	1 90 37 is_stmt 1               ; sparsemax_aot.py:90:37
	v_add_u32_e32 v11, 0x200, v0
	.loc	1 91 32                         ; sparsemax_aot.py:91:32
	v_cmp_gt_i32_e64 s[2:3], s9, v11
	.loc	1 92 24                         ; sparsemax_aot.py:92:24
	v_mov_b32_e32 v11, 0
	v_mov_b32_e32 v13, v11
	s_and_saveexec_b64 s[4:5], s[2:3]
	s_cbranch_execz .LBB0_41
; %bb.40:                               ;   in Loop: Header=BB0_35 Depth=1
	global_load_dword v13, v[6:7], off offset:2048
.LBB0_41:                               ;   in Loop: Header=BB0_35 Depth=1
	.loc	1 0 24 is_stmt 0                ; sparsemax_aot.py:0:24
	s_or_b64 exec, exec, s[4:5]
	.loc	1 91 32 is_stmt 1               ; sparsemax_aot.py:91:32
	v_add_u32_e32 v14, 0x300, v0
	v_cmp_gt_i32_e64 s[4:5], s9, v14
	.loc	1 92 24                         ; sparsemax_aot.py:92:24
	s_and_saveexec_b64 s[12:13], s[4:5]
	s_cbranch_execz .LBB0_43
; %bb.42:                               ;   in Loop: Header=BB0_35 Depth=1
	global_load_dword v11, v[6:7], off offset:3072
.LBB0_43:                               ;   in Loop: Header=BB0_35 Depth=1
	.loc	1 0 24 is_stmt 0                ; sparsemax_aot.py:0:24
	s_or_b64 exec, exec, s[12:13]
	.loc	1 93 25 is_stmt 1               ; sparsemax_aot.py:93:25
	v_mov_b32_e32 v14, 0
	v_mov_b32_e32 v16, v14
	s_and_saveexec_b64 s[12:13], vcc
	s_cbranch_execz .LBB0_45
; %bb.44:                               ;   in Loop: Header=BB0_35 Depth=1
	.loc	1 0 25 is_stmt 0                ; sparsemax_aot.py:0:25
	v_lshl_add_u64 v[6:7], v[0:1], 2, s[16:17]
	.loc	1 93 25                         ; sparsemax_aot.py:93:25
	global_load_dword v16, v[6:7], off
.LBB0_45:                               ;   in Loop: Header=BB0_35 Depth=1
	.loc	1 0 25                          ; sparsemax_aot.py:0:25
	s_or_b64 exec, exec, s[12:13]
	.loc	1 93 34                         ; sparsemax_aot.py:93:34
	v_lshl_add_u64 v[6:7], v[4:5], 2, s[16:17]
	.loc	1 93 25                         ; sparsemax_aot.py:93:25
	s_and_saveexec_b64 s[12:13], s[0:1]
	s_cbranch_execz .LBB0_47
; %bb.46:                               ;   in Loop: Header=BB0_35 Depth=1
	global_load_dword v14, v[6:7], off offset:1024
.LBB0_47:                               ;   in Loop: Header=BB0_35 Depth=1
	.loc	1 0 25                          ; sparsemax_aot.py:0:25
	s_or_b64 exec, exec, s[12:13]
	.loc	1 93 25                         ; sparsemax_aot.py:93:25
	v_mov_b32_e32 v15, 0
	v_mov_b32_e32 v17, v15
	s_and_saveexec_b64 s[12:13], s[2:3]
	s_cbranch_execnz .LBB0_53
; %bb.48:                               ;   in Loop: Header=BB0_35 Depth=1
	.loc	1 0 25                          ; sparsemax_aot.py:0:25
	s_or_b64 exec, exec, s[12:13]
	.loc	1 93 25                         ; sparsemax_aot.py:93:25
	s_and_saveexec_b64 s[12:13], s[4:5]
	s_cbranch_execnz .LBB0_54
.LBB0_49:                               ;   in Loop: Header=BB0_35 Depth=1
	.loc	1 0 25                          ; sparsemax_aot.py:0:25
	s_or_b64 exec, exec, s[12:13]
	.loc	1 100 37 is_stmt 1              ; sparsemax_aot.py:100:37
	s_and_saveexec_b64 s[12:13], vcc
	s_cbranch_execnz .LBB0_55
.LBB0_50:                               ;   in Loop: Header=BB0_35 Depth=1
	.loc	1 0 37 is_stmt 0                ; sparsemax_aot.py:0:37
	s_or_b64 exec, exec, s[12:13]
	.loc	1 100 26                        ; sparsemax_aot.py:100:26
	v_lshl_add_u64 v[0:1], v[4:5], 2, s[6:7]
	.loc	1 100 37                        ; sparsemax_aot.py:100:37
	s_and_saveexec_b64 s[12:13], s[0:1]
	s_cbranch_execnz .LBB0_56
.LBB0_51:                               ;   in Loop: Header=BB0_35 Depth=1
	.loc	1 0 37                          ; sparsemax_aot.py:0:37
	s_or_b64 exec, exec, s[12:13]
	.loc	1 100 37                        ; sparsemax_aot.py:100:37
	s_and_saveexec_b64 s[0:1], s[2:3]
	s_cbranch_execnz .LBB0_57
.LBB0_52:                               ;   in Loop: Header=BB0_35 Depth=1
	.loc	1 0 37                          ; sparsemax_aot.py:0:37
	s_or_b64 exec, exec, s[0:1]
	.loc	1 100 37                        ; sparsemax_aot.py:100:37
	s_and_saveexec_b64 s[0:1], s[4:5]
	s_cbranch_execz .LBB0_34
	s_branch .LBB0_58
.LBB0_53:                               ;   in Loop: Header=BB0_35 Depth=1
	.loc	1 93 25 is_stmt 1               ; sparsemax_aot.py:93:25
	global_load_dword v17, v[6:7], off offset:2048
	s_or_b64 exec, exec, s[12:13]
	s_and_saveexec_b64 s[12:13], s[4:5]
	s_cbranch_execz .LBB0_49
.LBB0_54:                               ;   in Loop: Header=BB0_35 Depth=1
	global_load_dword v15, v[6:7], off offset:3072
	s_or_b64 exec, exec, s[12:13]
	.loc	1 100 37                        ; sparsemax_aot.py:100:37
	s_and_saveexec_b64 s[12:13], vcc
	s_cbranch_execz .LBB0_50
.LBB0_55:                               ;   in Loop: Header=BB0_35 Depth=1
	.loc	1 0 37 is_stmt 0                ; sparsemax_aot.py:0:37
	s_waitcnt vmcnt(0)
	v_sub_f32_e32 v6, v16, v9
	v_cmp_lt_f32_e32 vcc, 0, v12
	v_lshl_add_u64 v[0:1], v[0:1], 2, s[6:7]
	s_nop 0
	v_cndmask_b32_e32 v6, 0, v6, vcc
	.loc	1 100 37                        ; sparsemax_aot.py:100:37
	global_store_dword v[0:1], v6, off
	s_or_b64 exec, exec, s[12:13]
	.loc	1 100 26                        ; sparsemax_aot.py:100:26
	v_lshl_add_u64 v[0:1], v[4:5], 2, s[6:7]
	.loc	1 100 37                        ; sparsemax_aot.py:100:37
	s_and_saveexec_b64 s[12:13], s[0:1]
	s_cbranch_execz .LBB0_51
.LBB0_56:                               ;   in Loop: Header=BB0_35 Depth=1
	.loc	1 97 21 is_stmt 1               ; sparsemax_aot.py:97:21
	s_waitcnt vmcnt(0)
	v_sub_f32_e32 v4, v14, v9
	.loc	1 94 23                         ; sparsemax_aot.py:94:23
	v_cmp_lt_f32_e32 vcc, 0, v10
	.loc	1 98 12                         ; sparsemax_aot.py:98:12
	s_nop 1
	v_cndmask_b32_e32 v4, 0, v4, vcc
	.loc	1 100 37                        ; sparsemax_aot.py:100:37
	global_store_dword v[0:1], v4, off offset:1024
	s_or_b64 exec, exec, s[12:13]
	s_and_saveexec_b64 s[0:1], s[2:3]
	s_cbranch_execz .LBB0_52
.LBB0_57:                               ;   in Loop: Header=BB0_35 Depth=1
	.loc	1 97 21                         ; sparsemax_aot.py:97:21
	s_waitcnt vmcnt(0)
	v_sub_f32_e32 v4, v17, v9
	.loc	1 94 23                         ; sparsemax_aot.py:94:23
	v_cmp_lt_f32_e32 vcc, 0, v13
	.loc	1 98 12                         ; sparsemax_aot.py:98:12
	s_nop 1
	v_cndmask_b32_e32 v4, 0, v4, vcc
	.loc	1 100 37                        ; sparsemax_aot.py:100:37
	global_store_dword v[0:1], v4, off offset:2048
	s_or_b64 exec, exec, s[0:1]
	s_and_saveexec_b64 s[0:1], s[4:5]
	s_cbranch_execz .LBB0_34
.LBB0_58:                               ;   in Loop: Header=BB0_35 Depth=1
	.loc	1 97 21                         ; sparsemax_aot.py:97:21
	s_waitcnt vmcnt(0)
	v_sub_f32_e32 v4, v15, v9
	.loc	1 94 23                         ; sparsemax_aot.py:94:23
	v_cmp_lt_f32_e32 vcc, 0, v11
	.loc	1 98 12                         ; sparsemax_aot.py:98:12
	s_nop 1
	v_cndmask_b32_e32 v4, 0, v4, vcc
	.loc	1 100 37                        ; sparsemax_aot.py:100:37
	global_store_dword v[0:1], v4, off offset:3072
	s_branch .LBB0_34
.LBB0_59:                               ; %._crit_edge7
	.loc	1 89 4                          ; sparsemax_aot.py:89:4
	s_endpgm
.Ltmp41:
	.section	.rodata,"a",@progbits
	.p2align	6, 0x0
	.amdhsa_kernel _sparsemax_backward_kernel
		.amdhsa_group_segment_fixed_size 0
		.amdhsa_private_segment_fixed_size 0
		.amdhsa_kernarg_size 48
		.amdhsa_user_sgpr_count 14
		.amdhsa_user_sgpr_dispatch_ptr 0
		.amdhsa_user_sgpr_queue_ptr 0
		.amdhsa_user_sgpr_kernarg_segment_ptr 1
		.amdhsa_user_sgpr_dispatch_id 0
		.amdhsa_user_sgpr_kernarg_preload_length 12
		.amdhsa_user_sgpr_kernarg_preload_offset 0
		.amdhsa_user_sgpr_private_segment_size 0
		.amdhsa_uses_dynamic_stack 0
		.amdhsa_enable_private_segment 0
		.amdhsa_system_sgpr_workgroup_id_x 1
		.amdhsa_system_sgpr_workgroup_id_y 0
		.amdhsa_system_sgpr_workgroup_id_z 0
		.amdhsa_system_sgpr_workgroup_info 0
		.amdhsa_system_vgpr_workitem_id 0
		.amdhsa_next_free_vgpr 18
		.amdhsa_next_free_sgpr 30
		.amdhsa_accum_offset 20
		.amdhsa_reserve_vcc 1
		.amdhsa_reserve_xnack_mask 1
		.amdhsa_float_round_mode_32 0
		.amdhsa_float_round_mode_16_64 0
		.amdhsa_float_denorm_mode_32 3
		.amdhsa_float_denorm_mode_16_64 3
		.amdhsa_dx10_clamp 1
		.amdhsa_ieee_mode 1
		.amdhsa_fp16_overflow 0
		.amdhsa_tg_split 0
		.amdhsa_exception_fp_ieee_invalid_op 0
		.amdhsa_exception_fp_denorm_src 0
		.amdhsa_exception_fp_ieee_div_zero 0
		.amdhsa_exception_fp_ieee_overflow 0
		.amdhsa_exception_fp_ieee_underflow 0
		.amdhsa_exception_fp_ieee_inexact 0
		.amdhsa_exception_int_div_zero 0
	.end_amdhsa_kernel
	.text
.Lfunc_end0:
	.size	_sparsemax_backward_kernel, .Lfunc_end0-_sparsemax_backward_kernel
	.cfi_endproc
                                        ; -- End function
	.set _sparsemax_backward_kernel.num_vgpr, 18
	.set _sparsemax_backward_kernel.num_agpr, 0
	.set _sparsemax_backward_kernel.numbered_sgpr, 30
	.set _sparsemax_backward_kernel.num_named_barrier, 0
	.set _sparsemax_backward_kernel.private_seg_size, 0
	.set _sparsemax_backward_kernel.uses_vcc, 1
	.set _sparsemax_backward_kernel.uses_flat_scratch, 0
	.set _sparsemax_backward_kernel.has_dyn_sized_stack, 0
	.set _sparsemax_backward_kernel.has_recursion, 0
	.set _sparsemax_backward_kernel.has_indirect_call, 0
	.section	.AMDGPU.csdata,"",@progbits
; Kernel info:
; codeLenInByte = 2012
; TotalNumSgprs: 36
; NumVgprs: 18
; NumAgprs: 0
; TotalNumVgprs: 18
; ScratchSize: 0
; MemoryBound: 0
; FloatMode: 240
; IeeeMode: 1
; LDSByteSize: 0 bytes/workgroup (compile time only)
; SGPRBlocks: 4
; VGPRBlocks: 2
; NumSGPRsForWavesPerEU: 36
; NumVGPRsForWavesPerEU: 18
; AccumOffset: 20
; Occupancy: 8
; WaveLimiterHint : 0
; COMPUTE_PGM_RSRC2:SCRATCH_EN: 0
; COMPUTE_PGM_RSRC2:USER_SGPR: 14
; COMPUTE_PGM_RSRC2:TRAP_HANDLER: 0
; COMPUTE_PGM_RSRC2:TGID_X_EN: 1
; COMPUTE_PGM_RSRC2:TGID_Y_EN: 0
; COMPUTE_PGM_RSRC2:TGID_Z_EN: 0
; COMPUTE_PGM_RSRC2:TIDIG_COMP_CNT: 0
; COMPUTE_PGM_RSRC3_GFX90A:ACCUM_OFFSET: 4
; COMPUTE_PGM_RSRC3_GFX90A:TG_SPLIT: 0
	.text
	.p2alignl 6, 3212836864
	.fill 256, 4, 3212836864
	.section	.AMDGPU.gpr_maximums,"",@progbits
	.set amdgpu.max_num_vgpr, 0
	.set amdgpu.max_num_agpr, 0
	.set amdgpu.max_num_sgpr, 0
	.set amdgpu.max_num_named_barrier, 0
	.text
	.section	.debug_abbrev,"",@progbits
	.byte	1                               ; Abbreviation Code
	.byte	17                              ; DW_TAG_compile_unit
	.byte	1                               ; DW_CHILDREN_yes
	.byte	37                              ; DW_AT_producer
	.byte	14                              ; DW_FORM_strp
	.byte	19                              ; DW_AT_language
	.byte	5                               ; DW_FORM_data2
	.byte	3                               ; DW_AT_name
	.byte	14                              ; DW_FORM_strp
	.byte	16                              ; DW_AT_stmt_list
	.byte	23                              ; DW_FORM_sec_offset
	.byte	27                              ; DW_AT_comp_dir
	.byte	14                              ; DW_FORM_strp
	.byte	17                              ; DW_AT_low_pc
	.byte	1                               ; DW_FORM_addr
	.byte	18                              ; DW_AT_high_pc
	.byte	6                               ; DW_FORM_data4
	.byte	0                               ; EOM(1)
	.byte	0                               ; EOM(2)
	.byte	2                               ; Abbreviation Code
	.byte	46                              ; DW_TAG_subprogram
	.byte	0                               ; DW_CHILDREN_no
	.byte	3                               ; DW_AT_name
	.byte	14                              ; DW_FORM_strp
	.byte	32                              ; DW_AT_inline
	.byte	11                              ; DW_FORM_data1
	.byte	0                               ; EOM(1)
	.byte	0                               ; EOM(2)
	.byte	3                               ; Abbreviation Code
	.byte	46                              ; DW_TAG_subprogram
	.byte	1                               ; DW_CHILDREN_yes
	.byte	17                              ; DW_AT_low_pc
	.byte	1                               ; DW_FORM_addr
	.byte	18                              ; DW_AT_high_pc
	.byte	6                               ; DW_FORM_data4
	.byte	49                              ; DW_AT_abstract_origin
	.byte	19                              ; DW_FORM_ref4
	.byte	0                               ; EOM(1)
	.byte	0                               ; EOM(2)
	.byte	4                               ; Abbreviation Code
	.byte	29                              ; DW_TAG_inlined_subroutine
	.byte	0                               ; DW_CHILDREN_no
	.byte	49                              ; DW_AT_abstract_origin
	.byte	19                              ; DW_FORM_ref4
	.byte	85                              ; DW_AT_ranges
	.byte	23                              ; DW_FORM_sec_offset
	.byte	88                              ; DW_AT_call_file
	.byte	11                              ; DW_FORM_data1
	.byte	89                              ; DW_AT_call_line
	.byte	11                              ; DW_FORM_data1
	.byte	87                              ; DW_AT_call_column
	.byte	11                              ; DW_FORM_data1
	.byte	0                               ; EOM(1)
	.byte	0                               ; EOM(2)
	.byte	5                               ; Abbreviation Code
	.byte	29                              ; DW_TAG_inlined_subroutine
	.byte	1                               ; DW_CHILDREN_yes
	.byte	49                              ; DW_AT_abstract_origin
	.byte	19                              ; DW_FORM_ref4
	.byte	85                              ; DW_AT_ranges
	.byte	23                              ; DW_FORM_sec_offset
	.byte	88                              ; DW_AT_call_file
	.byte	11                              ; DW_FORM_data1
	.byte	89                              ; DW_AT_call_line
	.byte	11                              ; DW_FORM_data1
	.byte	87                              ; DW_AT_call_column
	.byte	11                              ; DW_FORM_data1
	.byte	0                               ; EOM(1)
	.byte	0                               ; EOM(2)
	.byte	6                               ; Abbreviation Code
	.byte	29                              ; DW_TAG_inlined_subroutine
	.byte	0                               ; DW_CHILDREN_no
	.byte	49                              ; DW_AT_abstract_origin
	.byte	19                              ; DW_FORM_ref4
	.byte	85                              ; DW_AT_ranges
	.byte	23                              ; DW_FORM_sec_offset
	.byte	88                              ; DW_AT_call_file
	.byte	11                              ; DW_FORM_data1
	.byte	89                              ; DW_AT_call_line
	.byte	5                               ; DW_FORM_data2
	.byte	87                              ; DW_AT_call_column
	.byte	11                              ; DW_FORM_data1
	.byte	0                               ; EOM(1)
	.byte	0                               ; EOM(2)
	.byte	0                               ; EOM(3)
	.section	.debug_info,"",@progbits
.Lcu_begin0:
	.long	.Ldebug_info_end0-.Ldebug_info_start0 ; Length of Unit
.Ldebug_info_start0:
	.short	4                               ; DWARF version number
	.long	.debug_abbrev                   ; Offset Into Abbrev. Section
	.byte	8                               ; Address Size (in bytes)
	.byte	1                               ; Abbrev [1] 0xb:0x78 DW_TAG_compile_unit
	.long	.Linfo_string0                  ; DW_AT_producer
	.short	2                               ; DW_AT_language
	.long	.Linfo_string1                  ; DW_AT_name
	.long	.Lline_table_start0             ; DW_AT_stmt_list
	.long	.Linfo_string2                  ; DW_AT_comp_dir
	.quad	.Lfunc_begin0                   ; DW_AT_low_pc
	.long	.Lfunc_end0-.Lfunc_begin0       ; DW_AT_high_pc
	.byte	2                               ; Abbrev [2] 0x2a:0x6 DW_TAG_subprogram
	.long	.Linfo_string3                  ; DW_AT_name
	.byte	1                               ; DW_AT_inline
	.byte	3                               ; Abbrev [3] 0x30:0x52 DW_TAG_subprogram
	.quad	.Lfunc_begin0                   ; DW_AT_low_pc
	.long	.Lfunc_end0-.Lfunc_begin0       ; DW_AT_high_pc
	.long	42                              ; DW_AT_abstract_origin
	.byte	4                               ; Abbrev [4] 0x41:0xc DW_TAG_inlined_subroutine
	.long	42                              ; DW_AT_abstract_origin
	.long	.Ldebug_ranges0                 ; DW_AT_ranges
	.byte	1                               ; DW_AT_call_file
	.byte	80                              ; DW_AT_call_line
	.byte	41                              ; DW_AT_call_column
	.byte	5                               ; Abbrev [5] 0x4d:0x1a DW_TAG_inlined_subroutine
	.long	42                              ; DW_AT_abstract_origin
	.long	.Ldebug_ranges1                 ; DW_AT_ranges
	.byte	1                               ; DW_AT_call_file
	.byte	87                              ; DW_AT_call_line
	.byte	27                              ; DW_AT_call_column
	.byte	6                               ; Abbrev [6] 0x59:0xd DW_TAG_inlined_subroutine
	.long	42                              ; DW_AT_abstract_origin
	.long	.Ldebug_ranges2                 ; DW_AT_ranges
	.byte	2                               ; DW_AT_call_file
	.short	293                             ; DW_AT_call_line
	.byte	36                              ; DW_AT_call_column
	.byte	0                               ; End Of Children Mark
	.byte	5                               ; Abbrev [5] 0x67:0x1a DW_TAG_inlined_subroutine
	.long	42                              ; DW_AT_abstract_origin
	.long	.Ldebug_ranges3                 ; DW_AT_ranges
	.byte	1                               ; DW_AT_call_file
	.byte	86                              ; DW_AT_call_line
	.byte	25                              ; DW_AT_call_column
	.byte	6                               ; Abbrev [6] 0x73:0xd DW_TAG_inlined_subroutine
	.long	42                              ; DW_AT_abstract_origin
	.long	.Ldebug_ranges4                 ; DW_AT_ranges
	.byte	2                               ; DW_AT_call_file
	.short	293                             ; DW_AT_call_line
	.byte	36                              ; DW_AT_call_column
	.byte	0                               ; End Of Children Mark
	.byte	0                               ; End Of Children Mark
	;; [unrolled: 1-line block ×3, first 2 shown]
.Ldebug_info_end0:
	.section	.debug_ranges,"",@progbits
.Ldebug_ranges0:
	.quad	.Ltmp2-.Lfunc_begin0
	.quad	.Ltmp3-.Lfunc_begin0
	;; [unrolled: 1-line block ×6, first 2 shown]
	.quad	0
	.quad	0
.Ldebug_ranges1:
	.quad	.Ltmp3-.Lfunc_begin0
	.quad	.Ltmp4-.Lfunc_begin0
	;; [unrolled: 1-line block ×14, first 2 shown]
	.quad	0
	.quad	0
.Ldebug_ranges2:
	.quad	.Ltmp23-.Lfunc_begin0
	.quad	.Ltmp24-.Lfunc_begin0
	;; [unrolled: 1-line block ×14, first 2 shown]
	.quad	0
	.quad	0
.Ldebug_ranges3:
	.quad	.Ltmp10-.Lfunc_begin0
	.quad	.Ltmp11-.Lfunc_begin0
	;; [unrolled: 1-line block ×10, first 2 shown]
	.quad	0
	.quad	0
.Ldebug_ranges4:
	.quad	.Ltmp10-.Lfunc_begin0
	.quad	.Ltmp11-.Lfunc_begin0
	;; [unrolled: 1-line block ×10, first 2 shown]
	.quad	0
	.quad	0
	.section	.debug_str,"MS",@progbits,1
.Linfo_string0:
	.asciz	"triton"                        ; string offset=0
.Linfo_string1:
	.asciz	"sparsemax_aot.py"              ; string offset=7
.Linfo_string2:
	.asciz	"/root/src/amdgpu-assembly/repos/linkedin__Liger-Kernel/triton_aot_kernels" ; string offset=24
.Linfo_string3:
	.asciz	"_sparsemax_backward_kernel"    ; string offset=98
	.section	".note.GNU-stack","",@progbits
	.amdgpu_metadata
---
amdhsa.kernels:
  - .agpr_count:     0
    .args:
      - .address_space:  global
        .offset:         0
        .size:           8
        .value_kind:     global_buffer
      - .address_space:  global
        .offset:         8
        .size:           8
        .value_kind:     global_buffer
      - .address_space:  global
        .offset:         16
        .size:           8
        .value_kind:     global_buffer
      - .offset:         24
        .size:           4
        .value_kind:     by_value
      - .offset:         28
        .size:           4
        .value_kind:     by_value
      - .address_space:  global
        .offset:         32
        .size:           8
        .value_kind:     global_buffer
      - .address_space:  global
        .offset:         40
        .size:           8
        .value_kind:     global_buffer
    .group_segment_fixed_size: 0
    .kernarg_segment_align: 8
    .kernarg_segment_size: 48
    .max_flat_workgroup_size: 256
    .name:           _sparsemax_backward_kernel
    .private_segment_fixed_size: 0
    .sgpr_count:     36
    .sgpr_spill_count: 0
    .symbol:         _sparsemax_backward_kernel.kd
    .uniform_work_group_size: 1
    .uses_dynamic_stack: false
    .vgpr_count:     18
    .vgpr_spill_count: 0
    .wavefront_size: 64
amdhsa.target:   amdgcn-amd-amdhsa--gfx950
amdhsa.version:
  - 1
  - 2
...

	.end_amdgpu_metadata
	.section	.debug_line,"",@progbits
.Lline_table_start0:
